;; amdgpu-corpus repo=ROCm/rocFFT kind=compiled arch=gfx906 opt=O3
	.text
	.amdgcn_target "amdgcn-amd-amdhsa--gfx906"
	.amdhsa_code_object_version 6
	.protected	fft_rtc_back_len3888_factors_16_3_3_3_3_3_wgs_324_tpt_324_halfLds_dp_op_CI_CI_unitstride_sbrr_dirReg ; -- Begin function fft_rtc_back_len3888_factors_16_3_3_3_3_3_wgs_324_tpt_324_halfLds_dp_op_CI_CI_unitstride_sbrr_dirReg
	.globl	fft_rtc_back_len3888_factors_16_3_3_3_3_3_wgs_324_tpt_324_halfLds_dp_op_CI_CI_unitstride_sbrr_dirReg
	.p2align	8
	.type	fft_rtc_back_len3888_factors_16_3_3_3_3_3_wgs_324_tpt_324_halfLds_dp_op_CI_CI_unitstride_sbrr_dirReg,@function
fft_rtc_back_len3888_factors_16_3_3_3_3_3_wgs_324_tpt_324_halfLds_dp_op_CI_CI_unitstride_sbrr_dirReg: ; @fft_rtc_back_len3888_factors_16_3_3_3_3_3_wgs_324_tpt_324_halfLds_dp_op_CI_CI_unitstride_sbrr_dirReg
; %bb.0:
	s_load_dwordx4 s[8:11], s[4:5], 0x58
	s_load_dwordx4 s[12:15], s[4:5], 0x0
	;; [unrolled: 1-line block ×3, first 2 shown]
	v_mul_u32_u24_e32 v1, 0x195, v0
	v_lshrrev_b32_e32 v1, 17, v1
	v_add_u32_e32 v6, s6, v1
	s_waitcnt lgkmcnt(0)
	v_cmp_lt_u64_e64 s[0:1], s[14:15], 2
	v_mov_b32_e32 v1, 0
	v_mov_b32_e32 v4, 0
	;; [unrolled: 1-line block ×3, first 2 shown]
	s_and_b64 vcc, exec, s[0:1]
	v_mov_b32_e32 v5, 0
	s_cbranch_vccnz .LBB0_8
; %bb.1:
	s_load_dwordx2 s[0:1], s[4:5], 0x10
	s_add_u32 s2, s18, 8
	s_addc_u32 s3, s19, 0
	s_add_u32 s6, s16, 8
	v_mov_b32_e32 v4, 0
	s_addc_u32 s7, s17, 0
	v_mov_b32_e32 v5, 0
	s_waitcnt lgkmcnt(0)
	s_add_u32 s20, s0, 8
	v_mov_b32_e32 v65, v5
	s_addc_u32 s21, s1, 0
	s_mov_b64 s[22:23], 1
	v_mov_b32_e32 v64, v4
.LBB0_2:                                ; =>This Inner Loop Header: Depth=1
	s_load_dwordx2 s[24:25], s[20:21], 0x0
                                        ; implicit-def: $vgpr68_vgpr69
	s_waitcnt lgkmcnt(0)
	v_or_b32_e32 v2, s25, v7
	v_cmp_ne_u64_e32 vcc, 0, v[1:2]
	s_and_saveexec_b64 s[0:1], vcc
	s_xor_b64 s[26:27], exec, s[0:1]
	s_cbranch_execz .LBB0_4
; %bb.3:                                ;   in Loop: Header=BB0_2 Depth=1
	v_cvt_f32_u32_e32 v2, s24
	v_cvt_f32_u32_e32 v3, s25
	s_sub_u32 s0, 0, s24
	s_subb_u32 s1, 0, s25
	v_mac_f32_e32 v2, 0x4f800000, v3
	v_rcp_f32_e32 v2, v2
	v_mul_f32_e32 v2, 0x5f7ffffc, v2
	v_mul_f32_e32 v3, 0x2f800000, v2
	v_trunc_f32_e32 v3, v3
	v_mac_f32_e32 v2, 0xcf800000, v3
	v_cvt_u32_f32_e32 v3, v3
	v_cvt_u32_f32_e32 v2, v2
	v_mul_lo_u32 v8, s0, v3
	v_mul_hi_u32 v9, s0, v2
	v_mul_lo_u32 v11, s1, v2
	v_mul_lo_u32 v10, s0, v2
	v_add_u32_e32 v8, v9, v8
	v_add_u32_e32 v8, v8, v11
	v_mul_hi_u32 v9, v2, v10
	v_mul_lo_u32 v11, v2, v8
	v_mul_hi_u32 v13, v2, v8
	v_mul_hi_u32 v12, v3, v10
	v_mul_lo_u32 v10, v3, v10
	v_mul_hi_u32 v14, v3, v8
	v_add_co_u32_e32 v9, vcc, v9, v11
	v_addc_co_u32_e32 v11, vcc, 0, v13, vcc
	v_mul_lo_u32 v8, v3, v8
	v_add_co_u32_e32 v9, vcc, v9, v10
	v_addc_co_u32_e32 v9, vcc, v11, v12, vcc
	v_addc_co_u32_e32 v10, vcc, 0, v14, vcc
	v_add_co_u32_e32 v8, vcc, v9, v8
	v_addc_co_u32_e32 v9, vcc, 0, v10, vcc
	v_add_co_u32_e32 v2, vcc, v2, v8
	v_addc_co_u32_e32 v3, vcc, v3, v9, vcc
	v_mul_lo_u32 v8, s0, v3
	v_mul_hi_u32 v9, s0, v2
	v_mul_lo_u32 v10, s1, v2
	v_mul_lo_u32 v11, s0, v2
	v_add_u32_e32 v8, v9, v8
	v_add_u32_e32 v8, v8, v10
	v_mul_lo_u32 v12, v2, v8
	v_mul_hi_u32 v13, v2, v11
	v_mul_hi_u32 v14, v2, v8
	;; [unrolled: 1-line block ×3, first 2 shown]
	v_mul_lo_u32 v11, v3, v11
	v_mul_hi_u32 v9, v3, v8
	v_add_co_u32_e32 v12, vcc, v13, v12
	v_addc_co_u32_e32 v13, vcc, 0, v14, vcc
	v_mul_lo_u32 v8, v3, v8
	v_add_co_u32_e32 v11, vcc, v12, v11
	v_addc_co_u32_e32 v10, vcc, v13, v10, vcc
	v_addc_co_u32_e32 v9, vcc, 0, v9, vcc
	v_add_co_u32_e32 v8, vcc, v10, v8
	v_addc_co_u32_e32 v9, vcc, 0, v9, vcc
	v_add_co_u32_e32 v8, vcc, v2, v8
	v_addc_co_u32_e32 v9, vcc, v3, v9, vcc
	v_mad_u64_u32 v[2:3], s[0:1], v6, v9, 0
	v_mul_hi_u32 v10, v6, v8
	v_add_co_u32_e32 v10, vcc, v10, v2
	v_addc_co_u32_e32 v11, vcc, 0, v3, vcc
	v_mad_u64_u32 v[2:3], s[0:1], v7, v8, 0
	v_mad_u64_u32 v[8:9], s[0:1], v7, v9, 0
	v_add_co_u32_e32 v2, vcc, v10, v2
	v_addc_co_u32_e32 v2, vcc, v11, v3, vcc
	v_addc_co_u32_e32 v3, vcc, 0, v9, vcc
	v_add_co_u32_e32 v8, vcc, v2, v8
	v_addc_co_u32_e32 v9, vcc, 0, v3, vcc
	v_mul_lo_u32 v10, s25, v8
	v_mul_lo_u32 v11, s24, v9
	v_mad_u64_u32 v[2:3], s[0:1], s24, v8, 0
	v_add3_u32 v3, v3, v11, v10
	v_sub_u32_e32 v10, v7, v3
	v_mov_b32_e32 v11, s25
	v_sub_co_u32_e32 v2, vcc, v6, v2
	v_subb_co_u32_e64 v10, s[0:1], v10, v11, vcc
	v_subrev_co_u32_e64 v11, s[0:1], s24, v2
	v_subbrev_co_u32_e64 v10, s[0:1], 0, v10, s[0:1]
	v_cmp_le_u32_e64 s[0:1], s25, v10
	v_cndmask_b32_e64 v12, 0, -1, s[0:1]
	v_cmp_le_u32_e64 s[0:1], s24, v11
	v_cndmask_b32_e64 v11, 0, -1, s[0:1]
	v_cmp_eq_u32_e64 s[0:1], s25, v10
	v_cndmask_b32_e64 v10, v12, v11, s[0:1]
	v_add_co_u32_e64 v11, s[0:1], 2, v8
	v_addc_co_u32_e64 v12, s[0:1], 0, v9, s[0:1]
	v_add_co_u32_e64 v13, s[0:1], 1, v8
	v_addc_co_u32_e64 v14, s[0:1], 0, v9, s[0:1]
	v_subb_co_u32_e32 v3, vcc, v7, v3, vcc
	v_cmp_ne_u32_e64 s[0:1], 0, v10
	v_cmp_le_u32_e32 vcc, s25, v3
	v_cndmask_b32_e64 v10, v14, v12, s[0:1]
	v_cndmask_b32_e64 v12, 0, -1, vcc
	v_cmp_le_u32_e32 vcc, s24, v2
	v_cndmask_b32_e64 v2, 0, -1, vcc
	v_cmp_eq_u32_e32 vcc, s25, v3
	v_cndmask_b32_e32 v2, v12, v2, vcc
	v_cmp_ne_u32_e32 vcc, 0, v2
	v_cndmask_b32_e64 v2, v13, v11, s[0:1]
	v_cndmask_b32_e32 v69, v9, v10, vcc
	v_cndmask_b32_e32 v68, v8, v2, vcc
.LBB0_4:                                ;   in Loop: Header=BB0_2 Depth=1
	s_andn2_saveexec_b64 s[0:1], s[26:27]
	s_cbranch_execz .LBB0_6
; %bb.5:                                ;   in Loop: Header=BB0_2 Depth=1
	v_cvt_f32_u32_e32 v2, s24
	s_sub_i32 s26, 0, s24
	v_mov_b32_e32 v69, v1
	v_rcp_iflag_f32_e32 v2, v2
	v_mul_f32_e32 v2, 0x4f7ffffe, v2
	v_cvt_u32_f32_e32 v2, v2
	v_mul_lo_u32 v3, s26, v2
	v_mul_hi_u32 v3, v2, v3
	v_add_u32_e32 v2, v2, v3
	v_mul_hi_u32 v2, v6, v2
	v_mul_lo_u32 v3, v2, s24
	v_add_u32_e32 v8, 1, v2
	v_sub_u32_e32 v3, v6, v3
	v_subrev_u32_e32 v9, s24, v3
	v_cmp_le_u32_e32 vcc, s24, v3
	v_cndmask_b32_e32 v3, v3, v9, vcc
	v_cndmask_b32_e32 v2, v2, v8, vcc
	v_add_u32_e32 v8, 1, v2
	v_cmp_le_u32_e32 vcc, s24, v3
	v_cndmask_b32_e32 v68, v2, v8, vcc
.LBB0_6:                                ;   in Loop: Header=BB0_2 Depth=1
	s_or_b64 exec, exec, s[0:1]
	v_mul_lo_u32 v8, v69, s24
	v_mul_lo_u32 v9, v68, s25
	v_mad_u64_u32 v[2:3], s[0:1], v68, s24, 0
	s_load_dwordx2 s[0:1], s[6:7], 0x0
	s_load_dwordx2 s[24:25], s[2:3], 0x0
	v_add3_u32 v3, v3, v9, v8
	v_sub_co_u32_e32 v2, vcc, v6, v2
	v_subb_co_u32_e32 v3, vcc, v7, v3, vcc
	s_waitcnt lgkmcnt(0)
	v_mul_lo_u32 v6, s0, v3
	v_mul_lo_u32 v7, s1, v2
	v_mad_u64_u32 v[4:5], s[0:1], s0, v2, v[4:5]
	v_mul_lo_u32 v3, s24, v3
	v_mul_lo_u32 v8, s25, v2
	v_mad_u64_u32 v[64:65], s[0:1], s24, v2, v[64:65]
	s_add_u32 s22, s22, 1
	s_addc_u32 s23, s23, 0
	s_add_u32 s2, s2, 8
	v_add3_u32 v65, v8, v65, v3
	s_addc_u32 s3, s3, 0
	v_mov_b32_e32 v2, s14
	s_add_u32 s6, s6, 8
	v_mov_b32_e32 v3, s15
	s_addc_u32 s7, s7, 0
	v_cmp_ge_u64_e32 vcc, s[22:23], v[2:3]
	s_add_u32 s20, s20, 8
	v_add3_u32 v5, v7, v5, v6
	s_addc_u32 s21, s21, 0
	s_cbranch_vccnz .LBB0_9
; %bb.7:                                ;   in Loop: Header=BB0_2 Depth=1
	v_mov_b32_e32 v6, v68
	v_mov_b32_e32 v7, v69
	s_branch .LBB0_2
.LBB0_8:
	v_mov_b32_e32 v65, v5
	v_mov_b32_e32 v69, v7
	;; [unrolled: 1-line block ×4, first 2 shown]
.LBB0_9:
	s_load_dwordx2 s[0:1], s[4:5], 0x28
	v_mul_hi_u32_u24_e32 v1, 0xca4588, v0
	v_mul_u32_u24_e32 v1, 0x144, v1
	s_lshl_b64 s[14:15], s[14:15], 3
	v_sub_u32_e32 v66, v0, v1
	s_waitcnt lgkmcnt(0)
	v_cmp_gt_u64_e64 s[0:1], s[0:1], v[68:69]
	s_movk_i32 s2, 0xf3
	s_add_u32 s4, s18, s14
	v_cmp_gt_u32_e64 s[2:3], s2, v66
	s_addc_u32 s5, s19, s15
	s_and_b64 s[18:19], s[0:1], s[2:3]
                                        ; implicit-def: $vgpr18_vgpr19
                                        ; implicit-def: $vgpr30_vgpr31
                                        ; implicit-def: $vgpr14_vgpr15
                                        ; implicit-def: $vgpr2_vgpr3
                                        ; implicit-def: $vgpr22_vgpr23
                                        ; implicit-def: $vgpr26_vgpr27
                                        ; implicit-def: $vgpr10_vgpr11
                                        ; implicit-def: $vgpr54_vgpr55
                                        ; implicit-def: $vgpr34_vgpr35
                                        ; implicit-def: $vgpr58_vgpr59
                                        ; implicit-def: $vgpr46_vgpr47
                                        ; implicit-def: $vgpr62_vgpr63
                                        ; implicit-def: $vgpr42_vgpr43
                                        ; implicit-def: $vgpr50_vgpr51
                                        ; implicit-def: $vgpr38_vgpr39
                                        ; implicit-def: $vgpr6_vgpr7
	s_and_saveexec_b64 s[6:7], s[18:19]
	s_cbranch_execz .LBB0_11
; %bb.10:
	s_add_u32 s14, s16, s14
	s_addc_u32 s15, s17, s15
	s_load_dwordx2 s[14:15], s[14:15], 0x0
	v_mov_b32_e32 v6, s9
	v_mov_b32_e32 v67, 0
	s_waitcnt lgkmcnt(0)
	v_mul_lo_u32 v2, s15, v68
	v_mul_lo_u32 v3, s14, v69
	v_mad_u64_u32 v[0:1], s[14:15], s14, v68, 0
	v_add3_u32 v1, v1, v3, v2
	v_lshlrev_b64 v[0:1], 4, v[0:1]
	v_add_co_u32_e32 v2, vcc, s8, v0
	v_addc_co_u32_e32 v3, vcc, v6, v1, vcc
	v_lshlrev_b64 v[0:1], 4, v[4:5]
	s_movk_i32 s8, 0x1000
	v_add_co_u32_e32 v2, vcc, v2, v0
	v_addc_co_u32_e32 v3, vcc, v3, v1, vcc
	v_lshlrev_b64 v[0:1], 4, v[66:67]
	v_add_co_u32_e32 v8, vcc, v2, v0
	v_addc_co_u32_e32 v9, vcc, v3, v1, vcc
	v_add_co_u32_e32 v10, vcc, s8, v8
	v_addc_co_u32_e32 v11, vcc, 0, v9, vcc
	s_movk_i32 s8, 0x2000
	v_add_co_u32_e32 v24, vcc, s8, v8
	v_addc_co_u32_e32 v25, vcc, 0, v9, vcc
	s_movk_i32 s8, 0x3000
	;; [unrolled: 3-line block ×6, first 2 shown]
	v_add_co_u32_e32 v42, vcc, s8, v8
	v_addc_co_u32_e32 v43, vcc, 0, v9, vcc
	s_mov_b32 s8, 0x8000
	v_add_co_u32_e32 v44, vcc, s8, v8
	v_addc_co_u32_e32 v45, vcc, 0, v9, vcc
	s_mov_b32 s8, 0x9000
	;; [unrolled: 3-line block ×6, first 2 shown]
	v_add_co_u32_e32 v62, vcc, s8, v8
	v_addc_co_u32_e32 v63, vcc, 0, v9, vcc
	v_add_co_u32_e32 v70, vcc, 0xe000, v8
	v_addc_co_u32_e32 v71, vcc, 0, v9, vcc
	global_load_dwordx4 v[4:7], v[8:9], off
	global_load_dwordx4 v[16:19], v[8:9], off offset:3888
	global_load_dwordx4 v[28:31], v[10:11], off offset:3680
	;; [unrolled: 1-line block ×6, first 2 shown]
                                        ; kill: killed $vgpr34 killed $vgpr35
                                        ; kill: killed $vgpr32 killed $vgpr33
                                        ; kill: killed $vgpr26 killed $vgpr27
                                        ; kill: killed $vgpr8 killed $vgpr9
                                        ; kill: killed $vgpr24 killed $vgpr25
                                        ; kill: killed $vgpr10 killed $vgpr11
	s_nop 0
	global_load_dwordx4 v[24:27], v[40:41], off offset:2640
	global_load_dwordx4 v[8:11], v[42:43], off offset:2432
	;; [unrolled: 1-line block ×3, first 2 shown]
                                        ; kill: killed $vgpr40 killed $vgpr41
                                        ; kill: killed $vgpr44 killed $vgpr45
                                        ; kill: killed $vgpr42 killed $vgpr43
	global_load_dwordx4 v[52:55], v[46:47], off offset:2016
	global_load_dwordx4 v[32:35], v[56:57], off offset:1808
	s_nop 0
	global_load_dwordx4 v[56:59], v[58:59], off offset:1600
	s_nop 0
	;; [unrolled: 2-line block ×4, first 2 shown]
	global_load_dwordx4 v[40:43], v[70:71], off offset:976
.LBB0_11:
	s_or_b64 exec, exec, s[6:7]
	s_waitcnt vmcnt(5)
	v_add_f64 v[70:71], v[28:29], -v[52:53]
	v_add_f64 v[72:73], v[30:31], -v[54:55]
	s_waitcnt vmcnt(1)
	v_add_f64 v[60:61], v[36:37], -v[60:61]
	v_add_f64 v[62:63], v[38:39], -v[62:63]
	;; [unrolled: 1-line block ×6, first 2 shown]
	v_fma_f64 v[50:51], v[28:29], 2.0, -v[70:71]
	v_fma_f64 v[28:29], v[30:31], 2.0, -v[72:73]
	;; [unrolled: 1-line block ×4, first 2 shown]
	v_add_f64 v[38:39], v[20:21], -v[44:45]
	v_add_f64 v[44:45], v[22:23], -v[46:47]
	;; [unrolled: 1-line block ×3, first 2 shown]
	s_waitcnt vmcnt(0)
	v_add_f64 v[40:41], v[24:25], -v[40:41]
	v_add_f64 v[46:47], v[26:27], -v[42:43]
	v_fma_f64 v[16:17], v[16:17], 2.0, -v[48:49]
	v_fma_f64 v[18:19], v[18:19], 2.0, -v[58:59]
	;; [unrolled: 1-line block ×8, first 2 shown]
	v_add_f64 v[52:53], v[0:1], -v[56:57]
	v_add_f64 v[62:63], v[70:71], v[62:63]
	v_add_f64 v[60:61], v[72:73], -v[60:61]
	v_add_f64 v[56:57], v[28:29], -v[36:37]
	;; [unrolled: 1-line block ×4, first 2 shown]
	v_add_f64 v[36:37], v[44:45], v[48:49]
	v_add_f64 v[38:39], v[58:59], -v[38:39]
	v_add_f64 v[24:25], v[14:15], -v[24:25]
	v_add_f64 v[46:47], v[32:33], v[46:47]
	v_add_f64 v[40:41], v[34:35], -v[40:41]
	v_add_f64 v[42:43], v[50:51], -v[30:31]
	v_fma_f64 v[26:27], v[70:71], 2.0, -v[62:63]
	v_fma_f64 v[30:31], v[72:73], 2.0, -v[60:61]
	v_add_f64 v[44:45], v[74:75], -v[12:13]
	v_fma_f64 v[12:13], v[16:17], 2.0, -v[20:21]
	v_fma_f64 v[72:73], v[18:19], 2.0, -v[22:23]
	;; [unrolled: 1-line block ×7, first 2 shown]
	s_mov_b32 s6, 0x667f3bcd
	s_mov_b32 s7, 0x3fe6a09e
	;; [unrolled: 1-line block ×4, first 2 shown]
	v_fma_f64 v[70:71], v[74:75], 2.0, -v[44:45]
	v_mul_f64 v[74:75], v[26:27], s[6:7]
	v_mul_f64 v[76:77], v[30:31], s[6:7]
	v_fma_f64 v[26:27], v[14:15], s[8:9], v[16:17]
	v_fma_f64 v[30:31], v[18:19], s[8:9], v[48:49]
	;; [unrolled: 1-line block ×4, first 2 shown]
	v_add_f64 v[84:85], v[24:25], v[20:21]
	v_add_f64 v[44:45], v[22:23], -v[44:45]
	v_mul_f64 v[78:79], v[62:63], s[6:7]
	v_mul_f64 v[80:81], v[60:61], s[6:7]
	v_fma_f64 v[24:25], v[18:19], s[6:7], v[26:27]
	v_fma_f64 v[58:59], v[14:15], s[8:9], v[30:31]
	;; [unrolled: 1-line block ×4, first 2 shown]
	v_fma_f64 v[26:27], v[20:21], 2.0, -v[84:85]
	v_fma_f64 v[30:31], v[22:23], 2.0, -v[44:45]
	v_add_f64 v[20:21], v[12:13], -v[70:71]
	v_add_f64 v[82:83], v[72:73], -v[82:83]
	v_fma_f64 v[16:17], v[16:17], 2.0, -v[24:25]
	v_fma_f64 v[46:47], v[48:49], 2.0, -v[58:59]
	;; [unrolled: 1-line block ×4, first 2 shown]
	v_mul_f64 v[22:23], v[26:27], s[6:7]
	v_mul_f64 v[60:61], v[30:31], s[6:7]
	;; [unrolled: 1-line block ×4, first 2 shown]
	s_and_saveexec_b64 s[6:7], s[2:3]
	s_cbranch_execz .LBB0_13
; %bb.12:
	v_add_f64 v[8:9], v[4:5], -v[8:9]
	v_fma_f64 v[0:1], v[0:1], 2.0, -v[52:53]
	v_fma_f64 v[34:35], v[50:51], 2.0, -v[42:43]
	s_mov_b32 s14, 0xa6aea964
	s_mov_b32 s15, 0x3fd87de2
	;; [unrolled: 1-line block ×5, first 2 shown]
	v_add_f64 v[26:27], v[54:55], v[8:9]
	v_fma_f64 v[4:5], v[4:5], 2.0, -v[8:9]
	s_mov_b32 s8, 0xcf328d46
	v_fma_f64 v[12:13], v[12:13], 2.0, -v[20:21]
	v_add_f64 v[32:33], v[78:79], v[26:27]
	v_fma_f64 v[8:9], v[8:9], 2.0, -v[26:27]
	v_add_f64 v[0:1], v[4:5], -v[0:1]
	v_add_f64 v[40:41], v[80:81], v[32:33]
	v_add_f64 v[32:33], v[8:9], -v[74:75]
	v_add_f64 v[44:45], v[56:57], v[0:1]
	v_fma_f64 v[4:5], v[4:5], 2.0, -v[0:1]
	v_fma_f64 v[26:27], v[26:27], 2.0, -v[40:41]
	v_add_f64 v[50:51], v[76:77], v[32:33]
	v_fma_f64 v[0:1], v[0:1], 2.0, -v[44:45]
	v_add_f64 v[96:97], v[4:5], -v[34:35]
	v_fma_f64 v[84:85], v[14:15], s[8:9], v[40:41]
	v_add_f64 v[88:89], v[30:31], v[44:45]
	v_fma_f64 v[32:33], v[48:49], s[16:17], v[26:27]
	v_fma_f64 v[36:37], v[24:25], s[14:15], v[50:51]
	v_fma_f64 v[8:9], v[8:9], 2.0, -v[50:51]
	v_add_f64 v[90:91], v[0:1], -v[22:23]
	v_fma_f64 v[4:5], v[4:5], 2.0, -v[96:97]
	v_fma_f64 v[86:87], v[18:19], s[14:15], v[84:85]
	v_add_f64 v[84:85], v[62:63], v[88:89]
	v_fma_f64 v[34:35], v[70:71], s[8:9], v[32:33]
	v_fma_f64 v[38:39], v[58:59], s[8:9], v[36:37]
	s_mov_b32 s9, 0xbfed906b
	v_fma_f64 v[92:93], v[16:17], s[8:9], v[8:9]
	v_add_f64 v[32:33], v[60:61], v[90:91]
	v_add_f64 v[36:37], v[82:83], v[96:97]
	v_add_f64 v[88:89], v[4:5], -v[12:13]
	v_fma_f64 v[94:95], v[40:41], 2.0, -v[86:87]
	v_fma_f64 v[102:103], v[26:27], 2.0, -v[34:35]
	;; [unrolled: 1-line block ×3, first 2 shown]
	v_fma_f64 v[90:91], v[46:47], s[14:15], v[92:93]
	v_fma_f64 v[92:93], v[44:45], 2.0, -v[84:85]
	v_fma_f64 v[100:101], v[0:1], 2.0, -v[32:33]
	;; [unrolled: 1-line block ×4, first 2 shown]
	v_lshl_add_u32 v0, v66, 7, 0
	v_fma_f64 v[106:107], v[8:9], 2.0, -v[90:91]
	ds_write_b128 v0, v[92:95] offset:48
	ds_write_b128 v0, v[32:35] offset:80
	;; [unrolled: 1-line block ×6, first 2 shown]
	ds_write_b128 v0, v[104:107]
	ds_write_b128 v0, v[84:87] offset:112
.LBB0_13:
	s_or_b64 exec, exec, s[6:7]
	v_lshl_add_u32 v67, v66, 3, 0
	s_waitcnt lgkmcnt(0)
	s_barrier
	ds_read_b64 v[12:13], v67
	ds_read_b64 v[4:5], v67 offset:2592
	ds_read_b64 v[0:1], v67 offset:5184
	;; [unrolled: 1-line block ×11, first 2 shown]
	s_waitcnt lgkmcnt(0)
	s_barrier
	s_and_saveexec_b64 s[6:7], s[2:3]
	s_cbranch_execz .LBB0_15
; %bb.14:
	v_add_f64 v[10:11], v[6:7], -v[10:11]
	v_fma_f64 v[2:3], v[2:3], 2.0, -v[54:55]
	v_fma_f64 v[28:29], v[28:29], 2.0, -v[56:57]
	;; [unrolled: 1-line block ×3, first 2 shown]
	s_mov_b32 s2, 0xa6aea964
	s_mov_b32 s3, 0xbfd87de2
	s_mov_b32 s9, 0x3fd87de2
	s_mov_b32 s8, s2
	v_add_f64 v[52:53], v[10:11], -v[52:53]
	v_fma_f64 v[6:7], v[6:7], 2.0, -v[10:11]
	v_fma_f64 v[10:11], v[10:11], 2.0, -v[52:53]
	v_add_f64 v[54:55], v[52:53], v[80:81]
	v_add_f64 v[2:3], v[6:7], -v[2:3]
	v_add_f64 v[76:77], v[10:11], -v[76:77]
	;; [unrolled: 1-line block ×4, first 2 shown]
	v_fma_f64 v[6:7], v[6:7], 2.0, -v[2:3]
	v_add_f64 v[72:73], v[76:77], -v[74:75]
	v_fma_f64 v[74:75], v[52:53], 2.0, -v[78:79]
	v_fma_f64 v[2:3], v[2:3], 2.0, -v[42:43]
	v_add_f64 v[28:29], v[6:7], -v[28:29]
	v_fma_f64 v[10:11], v[10:11], 2.0, -v[72:73]
	v_fma_f64 v[52:53], v[70:71], s[2:3], v[74:75]
	v_fma_f64 v[54:55], v[58:59], s[8:9], v[72:73]
	v_add_f64 v[60:61], v[2:3], -v[60:61]
	s_mov_b32 s9, 0xbfed906b
	s_mov_b32 s8, 0xcf328d46
	v_add_f64 v[58:59], v[62:63], v[42:43]
	v_fma_f64 v[6:7], v[6:7], 2.0, -v[28:29]
	v_fma_f64 v[62:63], v[46:47], s[8:9], v[10:11]
	v_fma_f64 v[48:49], v[48:49], s[8:9], v[52:53]
	;; [unrolled: 1-line block ×3, first 2 shown]
	s_mov_b32 s9, 0x3fed906b
	v_fma_f64 v[70:71], v[18:19], s[8:9], v[78:79]
	v_add_f64 v[46:47], v[60:61], -v[22:23]
	v_add_f64 v[52:53], v[28:29], -v[20:21]
	;; [unrolled: 1-line block ×3, first 2 shown]
	v_fma_f64 v[24:25], v[16:17], s[2:3], v[62:63]
	v_add_f64 v[18:19], v[58:59], -v[30:31]
	v_fma_f64 v[58:59], v[74:75], 2.0, -v[48:49]
	v_fma_f64 v[16:17], v[72:73], 2.0, -v[54:55]
	v_fma_f64 v[20:21], v[14:15], s[2:3], v[70:71]
	v_fma_f64 v[56:57], v[2:3], 2.0, -v[46:47]
	v_fma_f64 v[14:15], v[28:29], 2.0, -v[52:53]
	;; [unrolled: 1-line block ×4, first 2 shown]
	s_movk_i32 s8, 0x78
	v_fma_f64 v[28:29], v[42:43], 2.0, -v[18:19]
	v_mad_u32_u24 v2, v66, s8, v67
	v_fma_f64 v[30:31], v[78:79], 2.0, -v[20:21]
	ds_write_b128 v2, v[46:49] offset:80
	ds_write_b128 v2, v[52:55] offset:96
	;; [unrolled: 1-line block ×5, first 2 shown]
	ds_write_b128 v2, v[60:63]
	ds_write_b128 v2, v[28:31] offset:48
	ds_write_b128 v2, v[18:21] offset:112
.LBB0_15:
	s_or_b64 exec, exec, s[6:7]
	v_add_u32_e32 v46, 0x144, v66
	v_and_b32_e32 v2, 15, v66
	v_add_u32_e32 v42, 0x288, v66
	v_lshlrev_b32_e32 v3, 5, v2
	v_and_b32_e32 v108, 15, v46
	s_load_dwordx2 s[2:3], s[4:5], 0x0
	s_waitcnt lgkmcnt(0)
	s_barrier
	global_load_dwordx4 v[14:17], v3, s[12:13] offset:16
	global_load_dwordx4 v[18:21], v3, s[12:13]
	v_lshlrev_b32_e32 v3, 5, v108
	v_and_b32_e32 v109, 15, v42
	v_add_u32_e32 v43, 0x3cc, v66
	global_load_dwordx4 v[22:25], v3, s[12:13] offset:16
	global_load_dwordx4 v[28:31], v3, s[12:13]
	v_lshlrev_b32_e32 v3, 5, v109
	v_and_b32_e32 v110, 15, v43
	global_load_dwordx4 v[52:55], v3, s[12:13] offset:16
	global_load_dwordx4 v[56:59], v3, s[12:13]
	v_lshlrev_b32_e32 v3, 5, v110
	global_load_dwordx4 v[60:63], v3, s[12:13]
	global_load_dwordx4 v[70:73], v3, s[12:13] offset:16
	ds_read_b64 v[6:7], v67
	ds_read_b64 v[10:11], v67 offset:2592
	ds_read_b64 v[47:48], v67 offset:5184
	;; [unrolled: 1-line block ×11, first 2 shown]
	s_mov_b32 s4, 0xe8584caa
	s_mov_b32 s5, 0xbfebb67a
	;; [unrolled: 1-line block ×4, first 2 shown]
	s_waitcnt vmcnt(0) lgkmcnt(0)
	s_barrier
	s_mov_b32 s8, 0xaaab
	s_movk_i32 s9, 0x1a00
	s_movk_i32 s14, 0x6c
	v_mul_f64 v[94:95], v[84:85], v[16:17]
	v_mul_f64 v[92:93], v[76:77], v[20:21]
	;; [unrolled: 1-line block ×14, first 2 shown]
	v_fma_f64 v[44:45], v[44:45], v[18:19], v[92:93]
	v_fma_f64 v[18:19], v[76:77], v[18:19], -v[20:21]
	v_fma_f64 v[20:21], v[50:51], v[14:15], v[94:95]
	v_mul_f64 v[62:63], v[26:27], v[62:63]
	v_mul_f64 v[72:73], v[32:33], v[72:73]
	v_fma_f64 v[14:15], v[84:85], v[14:15], -v[16:17]
	v_fma_f64 v[16:17], v[38:39], v[28:29], v[96:97]
	v_fma_f64 v[28:29], v[78:79], v[28:29], -v[30:31]
	v_fma_f64 v[30:31], v[40:41], v[22:23], v[98:99]
	;; [unrolled: 2-line block ×3, first 2 shown]
	v_fma_f64 v[34:35], v[80:81], v[56:57], -v[58:59]
	v_fma_f64 v[38:39], v[88:89], v[52:53], -v[54:55]
	v_fma_f64 v[26:27], v[26:27], v[60:61], v[104:105]
	v_fma_f64 v[32:33], v[32:33], v[70:71], v[106:107]
	;; [unrolled: 1-line block ×3, first 2 shown]
	v_add_f64 v[53:54], v[44:45], v[20:21]
	v_fma_f64 v[40:41], v[82:83], v[60:61], -v[62:63]
	v_fma_f64 v[49:50], v[90:91], v[70:71], -v[72:73]
	v_add_f64 v[55:56], v[18:19], -v[14:15]
	v_add_f64 v[57:58], v[6:7], v[18:19]
	v_add_f64 v[18:19], v[18:19], v[14:15]
	;; [unrolled: 1-line block ×3, first 2 shown]
	v_add_f64 v[80:81], v[34:35], -v[38:39]
	v_add_f64 v[82:83], v[47:48], v[34:35]
	v_add_f64 v[34:35], v[34:35], v[38:39]
	;; [unrolled: 1-line block ×4, first 2 shown]
	v_add_f64 v[70:71], v[28:29], -v[22:23]
	v_add_f64 v[72:73], v[10:11], v[28:29]
	v_add_f64 v[28:29], v[28:29], v[22:23]
	;; [unrolled: 1-line block ×4, first 2 shown]
	v_fma_f64 v[12:13], v[53:54], -0.5, v[12:13]
	v_add_f64 v[44:45], v[44:45], -v[20:21]
	v_add_f64 v[16:17], v[16:17], -v[30:31]
	v_add_f64 v[76:77], v[0:1], v[24:25]
	v_add_f64 v[24:25], v[24:25], -v[36:37]
	v_add_f64 v[84:85], v[8:9], v[26:27]
	v_add_f64 v[88:89], v[40:41], -v[49:50]
	v_fma_f64 v[6:7], v[18:19], -0.5, v[6:7]
	v_add_f64 v[18:19], v[59:60], v[30:31]
	v_fma_f64 v[30:31], v[34:35], -0.5, v[47:48]
	v_fma_f64 v[8:9], v[86:87], -0.5, v[8:9]
	v_fma_f64 v[3:4], v[61:62], -0.5, v[4:5]
	v_fma_f64 v[10:11], v[28:29], -0.5, v[10:11]
	v_fma_f64 v[0:1], v[78:79], -0.5, v[0:1]
	v_add_f64 v[90:91], v[74:75], v[40:41]
	v_add_f64 v[40:41], v[40:41], v[49:50]
	;; [unrolled: 1-line block ×3, first 2 shown]
	v_fma_f64 v[34:35], v[55:56], s[4:5], v[12:13]
	v_fma_f64 v[12:13], v[55:56], s[6:7], v[12:13]
	v_add_f64 v[28:29], v[76:77], v[36:37]
	v_fma_f64 v[36:37], v[44:45], s[6:7], v[6:7]
	v_fma_f64 v[5:6], v[44:45], s[4:5], v[6:7]
	v_add_f64 v[26:27], v[26:27], -v[32:33]
	v_fma_f64 v[51:52], v[24:25], s[6:7], v[30:31]
	v_fma_f64 v[24:25], v[24:25], s[4:5], v[30:31]
	v_add_f64 v[30:31], v[84:85], v[32:33]
	v_fma_f64 v[32:33], v[88:89], s[4:5], v[8:9]
	v_fma_f64 v[7:8], v[88:89], s[6:7], v[8:9]
	v_lshrrev_b32_e32 v9, 4, v66
	v_fma_f64 v[44:45], v[70:71], s[4:5], v[3:4]
	v_mul_u32_u24_e32 v9, 48, v9
	v_fma_f64 v[3:4], v[70:71], s[6:7], v[3:4]
	v_fma_f64 v[47:48], v[16:17], s[6:7], v[10:11]
	;; [unrolled: 1-line block ×4, first 2 shown]
	v_or_b32_e32 v2, v9, v2
	v_fma_f64 v[0:1], v[80:81], s[6:7], v[0:1]
	v_lshl_add_u32 v9, v2, 3, 0
	v_lshrrev_b32_e32 v2, 4, v46
	v_fma_f64 v[40:41], v[40:41], -0.5, v[74:75]
	v_mul_u32_u24_e32 v2, 48, v2
	v_or_b32_e32 v2, v2, v108
	v_add_f64 v[14:15], v[57:58], v[14:15]
	ds_write2_b64 v9, v[20:21], v[34:35] offset1:16
	ds_write_b64 v9, v[12:13] offset:256
	v_lshl_add_u32 v12, v2, 3, 0
	v_lshrrev_b32_e32 v2, 4, v42
	v_mul_u32_u24_e32 v2, 48, v2
	v_add_f64 v[22:23], v[72:73], v[22:23]
	v_or_b32_e32 v2, v2, v109
	ds_write2_b64 v12, v[18:19], v[44:45] offset1:16
	ds_write_b64 v12, v[3:4] offset:256
	v_lshl_add_u32 v4, v2, 3, 0
	v_add_f64 v[38:39], v[82:83], v[38:39]
	ds_write2_b64 v4, v[28:29], v[16:17] offset1:16
	ds_write_b64 v4, v[0:1] offset:256
	v_lshrrev_b32_e32 v0, 4, v43
	v_mul_u32_u24_e32 v0, 48, v0
	v_add_f64 v[49:50], v[90:91], v[49:50]
	v_fma_f64 v[53:54], v[26:27], s[6:7], v[40:41]
	v_or_b32_e32 v0, v0, v110
	v_fma_f64 v[26:27], v[26:27], s[4:5], v[40:41]
	v_lshl_add_u32 v13, v0, 3, 0
	ds_write2_b64 v13, v[30:31], v[32:33] offset1:16
	ds_write_b64 v13, v[7:8] offset:256
	s_waitcnt lgkmcnt(0)
	s_barrier
	ds_read_b64 v[40:41], v67
	ds_read_b64 v[44:45], v67 offset:2592
	ds_read_b64 v[2:3], v67 offset:5184
	;; [unrolled: 1-line block ×11, first 2 shown]
	s_waitcnt lgkmcnt(0)
	s_barrier
	ds_write2_b64 v9, v[14:15], v[36:37] offset1:16
	ds_write_b64 v9, v[5:6] offset:256
	ds_write2_b64 v12, v[22:23], v[47:48] offset1:16
	ds_write_b64 v12, v[10:11] offset:256
	;; [unrolled: 2-line block ×4, first 2 shown]
	v_mul_u32_u24_sdwa v4, v66, s8 dst_sel:DWORD dst_unused:UNUSED_PAD src0_sel:WORD_0 src1_sel:DWORD
	v_lshrrev_b32_e32 v4, 21, v4
	v_mul_lo_u16_e32 v5, 48, v4
	v_sub_u16_e32 v5, v66, v5
	v_lshlrev_b32_e32 v10, 5, v5
	v_mul_u32_u24_sdwa v14, v46, s8 dst_sel:DWORD dst_unused:UNUSED_PAD src0_sel:WORD_0 src1_sel:DWORD
	s_waitcnt lgkmcnt(0)
	s_barrier
	global_load_dwordx4 v[6:9], v10, s[12:13] offset:512
	s_nop 0
	global_load_dwordx4 v[10:13], v10, s[12:13] offset:528
	v_lshrrev_b32_e32 v63, 21, v14
	v_mul_lo_u16_e32 v14, 48, v63
	v_sub_u16_e32 v98, v46, v14
	v_lshlrev_b32_e32 v22, 5, v98
	global_load_dwordx4 v[14:17], v22, s[12:13] offset:512
	global_load_dwordx4 v[18:21], v22, s[12:13] offset:528
	v_mul_u32_u24_sdwa v22, v42, s8 dst_sel:DWORD dst_unused:UNUSED_PAD src0_sel:WORD_0 src1_sel:DWORD
	v_lshrrev_b32_e32 v99, 21, v22
	v_mul_lo_u16_e32 v22, 48, v99
	v_sub_u16_e32 v100, v42, v22
	v_lshlrev_b32_e32 v30, 5, v100
	global_load_dwordx4 v[22:25], v30, s[12:13] offset:512
	global_load_dwordx4 v[26:29], v30, s[12:13] offset:528
	v_mul_u32_u24_sdwa v30, v43, s8 dst_sel:DWORD dst_unused:UNUSED_PAD src0_sel:WORD_0 src1_sel:DWORD
	v_lshrrev_b32_e32 v101, 21, v30
	v_mul_lo_u16_e32 v30, 48, v101
	v_sub_u16_e32 v102, v43, v30
	v_lshlrev_b32_e32 v34, 5, v102
	global_load_dwordx4 v[30:33], v34, s[12:13] offset:512
	s_nop 0
	global_load_dwordx4 v[34:37], v34, s[12:13] offset:528
	ds_read_b64 v[38:39], v67 offset:10368
	ds_read_b64 v[47:48], v67 offset:12960
	;; [unrolled: 1-line block ×8, first 2 shown]
	ds_read_b64 v[88:89], v67
	ds_read_b64 v[90:91], v67 offset:2592
	ds_read_b64 v[92:93], v67 offset:5184
	ds_read_b64 v[94:95], v67 offset:7776
	v_mul_u32_u24_e32 v4, 0x480, v4
	v_lshlrev_b32_e32 v5, 3, v5
	v_add3_u32 v4, 0, v4, v5
	s_waitcnt vmcnt(0) lgkmcnt(0)
	s_barrier
	v_mul_u32_u24_e32 v5, 0x480, v63
	s_mov_b32 s8, 0xe38f
	v_mul_f64 v[84:85], v[38:39], v[8:9]
	v_mul_f64 v[8:9], v[55:56], v[8:9]
	;; [unrolled: 1-line block ×5, first 2 shown]
	v_fma_f64 v[55:56], v[55:56], v[6:7], v[84:85]
	v_fma_f64 v[6:7], v[38:39], v[6:7], -v[8:9]
	v_mul_f64 v[8:9], v[57:58], v[16:17]
	v_fma_f64 v[16:17], v[70:71], v[10:11], v[86:87]
	v_mul_f64 v[38:39], v[78:79], v[20:21]
	v_fma_f64 v[10:11], v[53:54], v[10:11], -v[12:13]
	v_mul_f64 v[12:13], v[72:73], v[20:21]
	v_mul_f64 v[53:54], v[49:50], v[24:25]
	;; [unrolled: 1-line block ×3, first 2 shown]
	v_fma_f64 v[20:21], v[57:58], v[14:15], v[96:97]
	v_fma_f64 v[8:9], v[47:48], v[14:15], -v[8:9]
	v_mul_f64 v[14:15], v[80:81], v[28:29]
	v_fma_f64 v[38:39], v[72:73], v[18:19], v[38:39]
	v_mul_f64 v[28:29], v[74:75], v[28:29]
	v_fma_f64 v[12:13], v[78:79], v[18:19], -v[12:13]
	v_mul_f64 v[18:19], v[51:52], v[32:33]
	v_fma_f64 v[47:48], v[59:60], v[22:23], v[53:54]
	v_fma_f64 v[22:23], v[49:50], v[22:23], -v[24:25]
	v_mul_f64 v[24:25], v[61:62], v[32:33]
	v_add_f64 v[32:33], v[55:56], v[16:17]
	v_fma_f64 v[14:15], v[74:75], v[26:27], v[14:15]
	v_fma_f64 v[26:27], v[80:81], v[26:27], -v[28:29]
	v_mul_f64 v[28:29], v[82:83], v[36:37]
	v_fma_f64 v[18:19], v[61:62], v[30:31], v[18:19]
	v_mul_f64 v[36:37], v[76:77], v[36:37]
	v_add_f64 v[49:50], v[40:41], v[55:56]
	v_fma_f64 v[24:25], v[51:52], v[30:31], -v[24:25]
	v_add_f64 v[30:31], v[6:7], v[10:11]
	v_fma_f64 v[32:33], v[32:33], -0.5, v[40:41]
	v_add_f64 v[40:41], v[6:7], -v[10:11]
	v_add_f64 v[6:7], v[88:89], v[6:7]
	v_fma_f64 v[28:29], v[76:77], v[34:35], v[28:29]
	v_fma_f64 v[34:35], v[82:83], v[34:35], -v[36:37]
	v_add_f64 v[36:37], v[49:50], v[16:17]
	v_add_f64 v[49:50], v[20:21], v[38:39]
	v_fma_f64 v[30:31], v[30:31], -0.5, v[88:89]
	v_add_f64 v[16:17], v[55:56], -v[16:17]
	v_fma_f64 v[51:52], v[40:41], s[4:5], v[32:33]
	v_fma_f64 v[32:33], v[40:41], s[6:7], v[32:33]
	v_add_f64 v[6:7], v[6:7], v[10:11]
	v_add_f64 v[10:11], v[8:9], v[12:13]
	;; [unrolled: 1-line block ×4, first 2 shown]
	v_fma_f64 v[44:45], v[49:50], -0.5, v[44:45]
	v_add_f64 v[49:50], v[8:9], -v[12:13]
	v_fma_f64 v[53:54], v[16:17], s[6:7], v[30:31]
	v_fma_f64 v[16:17], v[16:17], s[4:5], v[30:31]
	v_add_f64 v[8:9], v[90:91], v[8:9]
	v_fma_f64 v[10:11], v[10:11], -0.5, v[90:91]
	v_add_f64 v[20:21], v[20:21], -v[38:39]
	v_add_f64 v[30:31], v[40:41], v[38:39]
	v_add_f64 v[40:41], v[2:3], v[47:48]
	v_fma_f64 v[2:3], v[55:56], -0.5, v[2:3]
	v_add_f64 v[55:56], v[22:23], -v[26:27]
	v_fma_f64 v[38:39], v[49:50], s[4:5], v[44:45]
	v_add_f64 v[8:9], v[8:9], v[12:13]
	v_fma_f64 v[44:45], v[49:50], s[6:7], v[44:45]
	v_fma_f64 v[12:13], v[20:21], s[6:7], v[10:11]
	;; [unrolled: 1-line block ×3, first 2 shown]
	v_add_f64 v[20:21], v[40:41], v[14:15]
	v_add_f64 v[40:41], v[18:19], v[28:29]
	;; [unrolled: 1-line block ×3, first 2 shown]
	v_fma_f64 v[57:58], v[55:56], s[4:5], v[2:3]
	v_fma_f64 v[2:3], v[55:56], s[6:7], v[2:3]
	v_add_f64 v[55:56], v[24:25], v[34:35]
	v_add_f64 v[14:15], v[47:48], -v[14:15]
	v_add_f64 v[47:48], v[0:1], v[18:19]
	v_add_f64 v[22:23], v[92:93], v[22:23]
	v_fma_f64 v[0:1], v[40:41], -0.5, v[0:1]
	v_add_f64 v[40:41], v[24:25], -v[34:35]
	v_fma_f64 v[49:50], v[49:50], -0.5, v[92:93]
	v_add_f64 v[24:25], v[94:95], v[24:25]
	v_fma_f64 v[55:56], v[55:56], -0.5, v[94:95]
	v_add_f64 v[18:19], v[18:19], -v[28:29]
	v_add_f64 v[28:29], v[47:48], v[28:29]
	ds_write2_b64 v4, v[36:37], v[51:52] offset1:48
	ds_write_b64 v4, v[32:33] offset:768
	v_lshlrev_b32_e32 v32, 3, v98
	v_fma_f64 v[47:48], v[40:41], s[4:5], v[0:1]
	v_fma_f64 v[0:1], v[40:41], s[6:7], v[0:1]
	v_add3_u32 v5, 0, v5, v32
	v_add_f64 v[22:23], v[22:23], v[26:27]
	v_fma_f64 v[26:27], v[14:15], s[6:7], v[49:50]
	ds_write2_b64 v5, v[30:31], v[38:39] offset1:48
	ds_write_b64 v5, v[44:45] offset:768
	v_mul_u32_u24_e32 v30, 0x480, v99
	v_lshlrev_b32_e32 v31, 3, v100
	v_fma_f64 v[14:15], v[14:15], s[4:5], v[49:50]
	v_add3_u32 v30, 0, v30, v31
	v_add_f64 v[24:25], v[24:25], v[34:35]
	v_fma_f64 v[34:35], v[18:19], s[6:7], v[55:56]
	ds_write2_b64 v30, v[20:21], v[57:58] offset1:48
	ds_write_b64 v30, v[2:3] offset:768
	v_mul_u32_u24_e32 v2, 0x480, v101
	v_lshlrev_b32_e32 v3, 3, v102
	v_fma_f64 v[18:19], v[18:19], s[4:5], v[55:56]
	v_add3_u32 v20, 0, v2, v3
	ds_write2_b64 v20, v[28:29], v[47:48] offset1:48
	ds_write_b64 v20, v[0:1] offset:768
	s_waitcnt lgkmcnt(0)
	s_barrier
	ds_read_b64 v[38:39], v67
	ds_read_b64 v[40:41], v67 offset:2592
	ds_read_b64 v[2:3], v67 offset:5184
	;; [unrolled: 1-line block ×11, first 2 shown]
	s_waitcnt lgkmcnt(0)
	s_barrier
	ds_write2_b64 v4, v[6:7], v[53:54] offset1:48
	ds_write_b64 v4, v[16:17] offset:768
	ds_write2_b64 v5, v[8:9], v[12:13] offset1:48
	ds_write_b64 v5, v[10:11] offset:768
	;; [unrolled: 2-line block ×4, first 2 shown]
	v_mul_u32_u24_sdwa v4, v66, s8 dst_sel:DWORD dst_unused:UNUSED_PAD src0_sel:WORD_0 src1_sel:DWORD
	v_lshrrev_b32_e32 v4, 23, v4
	v_mul_u32_u24_sdwa v14, v46, s8 dst_sel:DWORD dst_unused:UNUSED_PAD src0_sel:WORD_0 src1_sel:DWORD
	v_mul_lo_u16_e32 v5, 0x90, v4
	v_lshrrev_b32_e32 v63, 23, v14
	v_sub_u16_e32 v5, v66, v5
	v_mul_lo_u16_e32 v14, 0x90, v63
	v_lshlrev_b32_e32 v10, 5, v5
	v_sub_u16_e32 v98, v46, v14
	s_waitcnt lgkmcnt(0)
	s_barrier
	global_load_dwordx4 v[6:9], v10, s[12:13] offset:2048
	s_nop 0
	global_load_dwordx4 v[10:13], v10, s[12:13] offset:2064
	v_lshlrev_b32_e32 v22, 5, v98
	global_load_dwordx4 v[14:17], v22, s[12:13] offset:2048
	global_load_dwordx4 v[18:21], v22, s[12:13] offset:2064
	v_mul_u32_u24_sdwa v22, v42, s8 dst_sel:DWORD dst_unused:UNUSED_PAD src0_sel:WORD_0 src1_sel:DWORD
	v_lshrrev_b32_e32 v99, 23, v22
	v_mul_lo_u16_e32 v22, 0x90, v99
	v_sub_u16_e32 v100, v42, v22
	v_lshlrev_b32_e32 v30, 5, v100
	global_load_dwordx4 v[22:25], v30, s[12:13] offset:2048
	global_load_dwordx4 v[26:29], v30, s[12:13] offset:2064
	v_mul_u32_u24_sdwa v30, v43, s8 dst_sel:DWORD dst_unused:UNUSED_PAD src0_sel:WORD_0 src1_sel:DWORD
	v_lshrrev_b32_e32 v101, 23, v30
	v_mul_lo_u16_e32 v30, 0x90, v101
	v_sub_u16_e32 v102, v43, v30
	v_lshlrev_b32_e32 v34, 5, v102
	global_load_dwordx4 v[30:33], v34, s[12:13] offset:2048
	s_nop 0
	global_load_dwordx4 v[34:37], v34, s[12:13] offset:2064
	ds_read_b64 v[53:54], v67 offset:10368
	ds_read_b64 v[70:71], v67 offset:12960
	;; [unrolled: 1-line block ×8, first 2 shown]
	ds_read_b64 v[88:89], v67
	ds_read_b64 v[90:91], v67 offset:2592
	ds_read_b64 v[92:93], v67 offset:5184
	;; [unrolled: 1-line block ×3, first 2 shown]
	v_mul_u32_u24_e32 v4, 0xd80, v4
	v_lshlrev_b32_e32 v5, 3, v5
	s_waitcnt vmcnt(0) lgkmcnt(0)
	s_barrier
	s_movk_i32 s8, 0x1000
	v_mul_f64 v[84:85], v[53:54], v[8:9]
	v_mul_f64 v[8:9], v[44:45], v[8:9]
	;; [unrolled: 1-line block ×5, first 2 shown]
	v_fma_f64 v[44:45], v[44:45], v[6:7], v[84:85]
	v_fma_f64 v[6:7], v[53:54], v[6:7], -v[8:9]
	v_mul_f64 v[8:9], v[47:48], v[16:17]
	v_fma_f64 v[16:17], v[55:56], v[10:11], v[86:87]
	v_mul_f64 v[53:54], v[78:79], v[20:21]
	v_fma_f64 v[10:11], v[76:77], v[10:11], -v[12:13]
	v_mul_f64 v[12:13], v[57:58], v[20:21]
	v_fma_f64 v[20:21], v[47:48], v[14:15], v[96:97]
	v_mul_f64 v[47:48], v[72:73], v[24:25]
	v_mul_f64 v[24:25], v[49:50], v[24:25]
	v_fma_f64 v[8:9], v[70:71], v[14:15], -v[8:9]
	v_mul_f64 v[14:15], v[80:81], v[28:29]
	v_fma_f64 v[53:54], v[57:58], v[18:19], v[53:54]
	v_mul_f64 v[28:29], v[59:60], v[28:29]
	v_fma_f64 v[12:13], v[78:79], v[18:19], -v[12:13]
	v_mul_f64 v[18:19], v[74:75], v[32:33]
	v_fma_f64 v[47:48], v[49:50], v[22:23], v[47:48]
	v_fma_f64 v[22:23], v[72:73], v[22:23], -v[24:25]
	v_mul_f64 v[24:25], v[51:52], v[32:33]
	v_add_f64 v[32:33], v[44:45], v[16:17]
	v_fma_f64 v[14:15], v[59:60], v[26:27], v[14:15]
	v_fma_f64 v[26:27], v[80:81], v[26:27], -v[28:29]
	v_mul_f64 v[28:29], v[82:83], v[36:37]
	v_fma_f64 v[18:19], v[51:52], v[30:31], v[18:19]
	v_mul_f64 v[36:37], v[61:62], v[36:37]
	v_add_f64 v[49:50], v[38:39], v[44:45]
	v_fma_f64 v[24:25], v[74:75], v[30:31], -v[24:25]
	v_add_f64 v[30:31], v[6:7], v[10:11]
	v_fma_f64 v[32:33], v[32:33], -0.5, v[38:39]
	v_add_f64 v[38:39], v[6:7], -v[10:11]
	v_add_f64 v[6:7], v[88:89], v[6:7]
	v_fma_f64 v[28:29], v[61:62], v[34:35], v[28:29]
	v_fma_f64 v[34:35], v[82:83], v[34:35], -v[36:37]
	v_add_f64 v[36:37], v[49:50], v[16:17]
	v_add_f64 v[49:50], v[20:21], v[53:54]
	v_add_f64 v[16:17], v[44:45], -v[16:17]
	v_add_f64 v[55:56], v[47:48], v[14:15]
	v_fma_f64 v[44:45], v[38:39], s[4:5], v[32:33]
	v_fma_f64 v[32:33], v[38:39], s[6:7], v[32:33]
	v_add_f64 v[38:39], v[6:7], v[10:11]
	v_add_f64 v[6:7], v[8:9], v[12:13]
	;; [unrolled: 1-line block ×3, first 2 shown]
	v_fma_f64 v[40:41], v[49:50], -0.5, v[40:41]
	v_add_f64 v[49:50], v[8:9], -v[12:13]
	v_add_f64 v[8:9], v[90:91], v[8:9]
	v_add_f64 v[20:21], v[20:21], -v[53:54]
	v_fma_f64 v[30:31], v[30:31], -0.5, v[88:89]
	v_fma_f64 v[6:7], v[6:7], -0.5, v[90:91]
	v_add_f64 v[10:11], v[10:11], v[53:54]
	v_add_f64 v[53:54], v[2:3], v[47:48]
	v_fma_f64 v[2:3], v[55:56], -0.5, v[2:3]
	v_add_f64 v[55:56], v[22:23], -v[26:27]
	v_add_f64 v[8:9], v[8:9], v[12:13]
	v_fma_f64 v[51:52], v[16:17], s[6:7], v[30:31]
	v_fma_f64 v[16:17], v[16:17], s[4:5], v[30:31]
	;; [unrolled: 1-line block ×4, first 2 shown]
	v_add_f64 v[6:7], v[53:54], v[14:15]
	v_add_f64 v[53:54], v[18:19], v[28:29]
	v_fma_f64 v[30:31], v[49:50], s[4:5], v[40:41]
	v_fma_f64 v[40:41], v[49:50], s[6:7], v[40:41]
	v_add_f64 v[49:50], v[22:23], v[26:27]
	v_fma_f64 v[57:58], v[55:56], s[4:5], v[2:3]
	v_fma_f64 v[2:3], v[55:56], s[6:7], v[2:3]
	v_add_f64 v[55:56], v[24:25], v[34:35]
	v_add_f64 v[14:15], v[47:48], -v[14:15]
	v_add_f64 v[47:48], v[0:1], v[18:19]
	v_fma_f64 v[0:1], v[53:54], -0.5, v[0:1]
	v_add_f64 v[53:54], v[24:25], -v[34:35]
	v_add_f64 v[22:23], v[92:93], v[22:23]
	v_fma_f64 v[49:50], v[49:50], -0.5, v[92:93]
	v_add_f64 v[24:25], v[94:95], v[24:25]
	v_fma_f64 v[55:56], v[55:56], -0.5, v[94:95]
	v_add_f64 v[18:19], v[18:19], -v[28:29]
	v_add_f64 v[28:29], v[47:48], v[28:29]
	v_fma_f64 v[47:48], v[53:54], s[4:5], v[0:1]
	v_fma_f64 v[0:1], v[53:54], s[6:7], v[0:1]
	v_add_f64 v[22:23], v[22:23], v[26:27]
	v_fma_f64 v[26:27], v[14:15], s[6:7], v[49:50]
	v_fma_f64 v[14:15], v[14:15], s[4:5], v[49:50]
	v_add3_u32 v49, 0, v4, v5
	v_mul_u32_u24_e32 v4, 0xd80, v63
	v_lshlrev_b32_e32 v5, 3, v98
	ds_write2_b64 v49, v[36:37], v[44:45] offset1:144
	ds_write_b64 v49, v[32:33] offset:2304
	v_add3_u32 v32, 0, v4, v5
	v_mul_u32_u24_e32 v4, 0xd80, v99
	v_lshlrev_b32_e32 v5, 3, v100
	ds_write2_b64 v32, v[10:11], v[30:31] offset1:144
	ds_write_b64 v32, v[40:41] offset:2304
	v_add3_u32 v30, 0, v4, v5
	v_add_f64 v[24:25], v[24:25], v[34:35]
	v_fma_f64 v[34:35], v[18:19], s[6:7], v[55:56]
	ds_write2_b64 v30, v[6:7], v[57:58] offset1:144
	ds_write_b64 v30, v[2:3] offset:2304
	v_mul_u32_u24_e32 v2, 0xd80, v101
	v_lshlrev_b32_e32 v3, 3, v102
	v_fma_f64 v[18:19], v[18:19], s[4:5], v[55:56]
	v_add3_u32 v31, 0, v2, v3
	ds_write2_b64 v31, v[28:29], v[47:48] offset1:144
	ds_write_b64 v31, v[0:1] offset:2304
	s_waitcnt lgkmcnt(0)
	s_barrier
	ds_read_b64 v[6:7], v67
	ds_read_b64 v[4:5], v67 offset:2592
	ds_read_b64 v[2:3], v67 offset:5184
	;; [unrolled: 1-line block ×11, first 2 shown]
	s_waitcnt lgkmcnt(0)
	s_barrier
	ds_write2_b64 v49, v[38:39], v[51:52] offset1:144
	ds_write_b64 v49, v[16:17] offset:2304
	ds_write2_b64 v32, v[8:9], v[12:13] offset1:144
	ds_write_b64 v32, v[20:21] offset:2304
	ds_write2_b64 v30, v[22:23], v[26:27] offset1:144
	ds_write_b64 v30, v[14:15] offset:2304
	ds_write2_b64 v31, v[24:25], v[34:35] offset1:144
	ds_write_b64 v31, v[18:19] offset:2304
	v_lshlrev_b32_e32 v8, 1, v66
	v_mov_b32_e32 v9, 0
	v_lshlrev_b64 v[12:13], 4, v[8:9]
	v_mov_b32_e32 v33, s13
	v_add_co_u32_e32 v34, vcc, s12, v12
	v_addc_co_u32_e32 v35, vcc, v33, v13, vcc
	v_add_co_u32_e32 v17, vcc, s9, v34
	v_addc_co_u32_e32 v18, vcc, 0, v35, vcc
	;; [unrolled: 2-line block ×3, first 2 shown]
	v_add_u32_e32 v8, 0xffffff94, v66
	v_cmp_gt_u32_e32 vcc, s14, v66
	s_waitcnt lgkmcnt(0)
	s_barrier
	global_load_dwordx4 v[13:16], v[12:13], off offset:2560
	s_nop 0
	global_load_dwordx4 v[17:20], v[17:18], off offset:16
	v_cndmask_b32_e32 v12, v8, v46, vcc
	v_lshlrev_b32_e32 v8, 1, v12
	v_lshlrev_b64 v[21:22], 4, v[8:9]
	v_lshrrev_b16_e32 v47, 4, v43
	v_add_co_u32_e32 v8, vcc, s12, v21
	v_addc_co_u32_e32 v21, vcc, v33, v22, vcc
	v_add_co_u32_e32 v29, vcc, s9, v8
	v_addc_co_u32_e32 v30, vcc, 0, v21, vcc
	v_add_co_u32_e32 v31, vcc, s8, v8
	v_lshrrev_b16_e32 v8, 4, v42
	v_mul_u32_u24_e32 v8, 0x12f7, v8
	v_addc_co_u32_e32 v32, vcc, 0, v21, vcc
	v_lshrrev_b32_e32 v8, 17, v8
	global_load_dwordx4 v[21:24], v[31:32], off offset:2560
	global_load_dwordx4 v[25:28], v[29:30], off offset:16
	v_mul_lo_u16_e32 v29, 0x1b0, v8
	v_sub_u16_e32 v63, v42, v29
	v_lshlrev_b32_e32 v29, 5, v63
	v_add_co_u32_e32 v29, vcc, s12, v29
	v_addc_co_u32_e32 v30, vcc, 0, v33, vcc
	v_add_co_u32_e32 v36, vcc, s9, v29
	v_addc_co_u32_e32 v37, vcc, 0, v30, vcc
	v_mul_u32_u24_e32 v47, 0x12f7, v47
	v_add_co_u32_e32 v29, vcc, s8, v29
	v_lshrrev_b32_e32 v47, 17, v47
	v_addc_co_u32_e32 v30, vcc, 0, v30, vcc
	v_mul_lo_u16_e32 v47, 0x1b0, v47
	global_load_dwordx4 v[29:32], v[29:30], off offset:2560
	s_nop 0
	global_load_dwordx4 v[36:39], v[36:37], off offset:16
	v_sub_u16_e32 v102, v43, v47
	v_lshlrev_b32_e32 v47, 5, v102
	v_add_co_u32_e32 v51, vcc, s12, v47
	v_addc_co_u32_e32 v33, vcc, 0, v33, vcc
	v_add_co_u32_e32 v47, vcc, s8, v51
	v_addc_co_u32_e32 v48, vcc, 0, v33, vcc
	v_add_co_u32_e32 v51, vcc, s9, v51
	global_load_dwordx4 v[47:50], v[47:48], off offset:2560
	v_addc_co_u32_e32 v52, vcc, 0, v33, vcc
	global_load_dwordx4 v[51:54], v[51:52], off offset:16
	ds_read_b64 v[72:73], v67 offset:10368
	ds_read_b64 v[74:75], v67 offset:12960
	;; [unrolled: 1-line block ×8, first 2 shown]
	ds_read_b64 v[92:93], v67
	ds_read_b64 v[94:95], v67 offset:2592
	ds_read_b64 v[96:97], v67 offset:5184
	;; [unrolled: 1-line block ×3, first 2 shown]
	s_movk_i32 s9, 0x6b
	s_waitcnt vmcnt(0) lgkmcnt(0)
	s_barrier
	v_cmp_lt_u32_e32 vcc, s9, v66
	v_mul_f64 v[88:89], v[72:73], v[15:16]
	v_mul_f64 v[15:16], v[40:41], v[15:16]
	;; [unrolled: 1-line block ×4, first 2 shown]
	v_fma_f64 v[40:41], v[40:41], v[13:14], v[88:89]
	v_fma_f64 v[13:14], v[72:73], v[13:14], -v[15:16]
	v_mul_f64 v[100:101], v[74:75], v[23:24]
	v_mul_f64 v[15:16], v[44:45], v[23:24]
	v_fma_f64 v[23:24], v[59:60], v[17:18], v[90:91]
	v_mul_f64 v[59:60], v[82:83], v[27:28]
	v_fma_f64 v[17:18], v[80:81], v[17:18], -v[19:20]
	v_mul_f64 v[19:20], v[61:62], v[27:28]
	v_fma_f64 v[27:28], v[44:45], v[21:22], v[100:101]
	v_fma_f64 v[15:16], v[74:75], v[21:22], -v[15:16]
	v_fma_f64 v[59:60], v[61:62], v[25:26], v[59:60]
	v_fma_f64 v[19:20], v[82:83], v[25:26], -v[19:20]
	v_mul_f64 v[44:45], v[76:77], v[31:32]
	v_mul_f64 v[31:32], v[55:56], v[31:32]
	;; [unrolled: 1-line block ×4, first 2 shown]
	v_fma_f64 v[44:45], v[55:56], v[29:30], v[44:45]
	v_fma_f64 v[29:30], v[76:77], v[29:30], -v[31:32]
	v_fma_f64 v[21:22], v[70:71], v[36:37], v[21:22]
	v_fma_f64 v[36:37], v[84:85], v[36:37], -v[38:39]
	v_add_f64 v[55:56], v[6:7], v[40:41]
	v_mul_f64 v[25:26], v[78:79], v[49:50]
	v_mul_f64 v[31:32], v[57:58], v[49:50]
	v_add_f64 v[49:50], v[40:41], v[23:24]
	v_mul_f64 v[38:39], v[86:87], v[53:54]
	v_mul_f64 v[53:54], v[10:11], v[53:54]
	v_fma_f64 v[25:26], v[57:58], v[47:48], v[25:26]
	v_fma_f64 v[31:32], v[78:79], v[47:48], -v[31:32]
	v_add_f64 v[47:48], v[13:14], v[17:18]
	v_fma_f64 v[6:7], v[49:50], -0.5, v[6:7]
	v_add_f64 v[49:50], v[13:14], -v[17:18]
	v_add_f64 v[13:14], v[92:93], v[13:14]
	v_fma_f64 v[10:11], v[10:11], v[51:52], v[38:39]
	v_fma_f64 v[38:39], v[86:87], v[51:52], -v[53:54]
	v_add_f64 v[53:54], v[27:28], v[59:60]
	v_add_f64 v[51:52], v[55:56], v[23:24]
	v_fma_f64 v[47:48], v[47:48], -0.5, v[92:93]
	v_add_f64 v[23:24], v[40:41], -v[23:24]
	v_fma_f64 v[40:41], v[49:50], s[4:5], v[6:7]
	v_fma_f64 v[6:7], v[49:50], s[6:7], v[6:7]
	v_add_f64 v[49:50], v[13:14], v[17:18]
	v_add_f64 v[13:14], v[15:16], v[19:20]
	;; [unrolled: 1-line block ×4, first 2 shown]
	v_fma_f64 v[4:5], v[53:54], -0.5, v[4:5]
	v_add_f64 v[53:54], v[15:16], -v[19:20]
	v_add_f64 v[15:16], v[94:95], v[15:16]
	v_fma_f64 v[55:56], v[23:24], s[6:7], v[47:48]
	v_fma_f64 v[47:48], v[23:24], s[4:5], v[47:48]
	v_fma_f64 v[13:14], v[13:14], -0.5, v[94:95]
	v_add_f64 v[23:24], v[27:28], -v[59:60]
	v_add_f64 v[17:18], v[17:18], v[59:60]
	v_add_f64 v[59:60], v[2:3], v[44:45]
	v_fma_f64 v[2:3], v[57:58], -0.5, v[2:3]
	v_add_f64 v[57:58], v[29:30], -v[36:37]
	v_fma_f64 v[27:28], v[53:54], s[4:5], v[4:5]
	v_fma_f64 v[4:5], v[53:54], s[6:7], v[4:5]
	v_add_f64 v[53:54], v[15:16], v[19:20]
	v_add_f64 v[15:16], v[29:30], v[36:37]
	;; [unrolled: 1-line block ×3, first 2 shown]
	v_fma_f64 v[61:62], v[23:24], s[6:7], v[13:14]
	v_fma_f64 v[70:71], v[23:24], s[4:5], v[13:14]
	v_add_f64 v[13:14], v[59:60], v[21:22]
	v_fma_f64 v[23:24], v[57:58], s[4:5], v[2:3]
	v_fma_f64 v[2:3], v[57:58], s[6:7], v[2:3]
	v_add_f64 v[57:58], v[31:32], v[38:39]
	v_add_f64 v[21:22], v[44:45], -v[21:22]
	v_add_f64 v[44:45], v[0:1], v[25:26]
	v_fma_f64 v[15:16], v[15:16], -0.5, v[96:97]
	v_fma_f64 v[0:1], v[19:20], -0.5, v[0:1]
	v_add_f64 v[19:20], v[31:32], -v[38:39]
	v_add_f64 v[29:30], v[96:97], v[29:30]
	v_add_f64 v[31:32], v[98:99], v[31:32]
	v_fma_f64 v[57:58], v[57:58], -0.5, v[98:99]
	v_add_f64 v[25:26], v[25:26], -v[10:11]
	v_add_f64 v[10:11], v[44:45], v[10:11]
	v_fma_f64 v[59:60], v[21:22], s[6:7], v[15:16]
	v_fma_f64 v[72:73], v[21:22], s[4:5], v[15:16]
	;; [unrolled: 1-line block ×4, first 2 shown]
	ds_write_b64 v67, v[51:52]
	ds_write_b64 v67, v[40:41] offset:3456
	ds_write_b64 v67, v[6:7] offset:6912
	v_mov_b32_e32 v6, 0x2880
	v_cndmask_b32_e32 v6, 0, v6, vcc
	v_lshlrev_b32_e32 v7, 3, v12
	v_add3_u32 v6, 0, v6, v7
	ds_write_b64 v6, v[17:18]
	ds_write_b64 v6, v[27:28] offset:3456
	ds_write_b64 v6, v[4:5] offset:6912
	v_mul_u32_u24_e32 v4, 0x2880, v8
	v_lshlrev_b32_e32 v5, 3, v63
	v_add3_u32 v4, 0, v4, v5
	ds_write_b64 v4, v[13:14]
	ds_write_b64 v4, v[23:24] offset:3456
	ds_write_b64 v4, v[2:3] offset:6912
	v_lshl_add_u32 v2, v102, 3, 0
	v_add_f64 v[36:37], v[29:30], v[36:37]
	v_add_f64 v[38:39], v[31:32], v[38:39]
	v_fma_f64 v[44:45], v[25:26], s[6:7], v[57:58]
	v_fma_f64 v[57:58], v[25:26], s[4:5], v[57:58]
	ds_write_b64 v2, v[10:11] offset:20736
	ds_write_b64 v2, v[15:16] offset:24192
	;; [unrolled: 1-line block ×3, first 2 shown]
	s_waitcnt lgkmcnt(0)
	s_barrier
	ds_read_b64 v[10:11], v67
	ds_read_b64 v[12:13], v67 offset:2592
	ds_read_b64 v[18:19], v67 offset:5184
	;; [unrolled: 1-line block ×11, first 2 shown]
	s_waitcnt lgkmcnt(0)
	s_barrier
	ds_write_b64 v67, v[49:50]
	ds_write_b64 v67, v[55:56] offset:3456
	ds_write_b64 v67, v[47:48] offset:6912
	ds_write_b64 v6, v[53:54]
	ds_write_b64 v6, v[61:62] offset:3456
	ds_write_b64 v6, v[70:71] offset:6912
	;; [unrolled: 3-line block ×3, first 2 shown]
	ds_write_b64 v2, v[38:39] offset:20736
	ds_write_b64 v2, v[44:45] offset:24192
	;; [unrolled: 1-line block ×3, first 2 shown]
	s_waitcnt lgkmcnt(0)
	s_barrier
	s_and_saveexec_b64 s[14:15], s[0:1]
	s_cbranch_execz .LBB0_17
; %bb.16:
	v_lshlrev_b32_e32 v8, 1, v43
	v_lshlrev_b64 v[0:1], 4, v[8:9]
	v_mov_b32_e32 v44, s13
	v_add_co_u32_e32 v0, vcc, s12, v0
	v_addc_co_u32_e32 v1, vcc, v44, v1, vcc
	s_movk_i32 s0, 0x5000
	v_add_co_u32_e32 v36, vcc, s0, v0
	v_addc_co_u32_e32 v37, vcc, 0, v1, vcc
	v_lshlrev_b32_e32 v8, 1, v42
	global_load_dwordx4 v[0:3], v[36:37], off
	global_load_dwordx4 v[4:7], v[36:37], off offset:16
	v_lshlrev_b64 v[36:37], 4, v[8:9]
	s_mov_b32 s1, 0xa000
	v_add_co_u32_e32 v8, vcc, s12, v36
	v_addc_co_u32_e32 v36, vcc, v44, v37, vcc
	v_add_co_u32_e32 v40, vcc, s0, v8
	v_addc_co_u32_e32 v41, vcc, 0, v36, vcc
	v_add_co_u32_e32 v34, vcc, s0, v34
	v_addc_co_u32_e32 v35, vcc, 0, v35, vcc
	v_lshlrev_b32_e32 v8, 1, v46
	global_load_dwordx4 v[36:39], v[40:41], off
	global_load_dwordx4 v[47:50], v[40:41], off offset:16
	global_load_dwordx4 v[51:54], v[34:35], off
	global_load_dwordx4 v[55:58], v[34:35], off offset:16
	v_lshlrev_b64 v[34:35], 4, v[8:9]
	v_mul_lo_u32 v46, s2, v69
	v_add_co_u32_e32 v8, vcc, s12, v34
	v_addc_co_u32_e32 v35, vcc, v44, v35, vcc
	v_add_co_u32_e32 v34, vcc, s0, v8
	v_addc_co_u32_e32 v35, vcc, 0, v35, vcc
	global_load_dwordx4 v[59:62], v[34:35], off
	global_load_dwordx4 v[70:73], v[34:35], off offset:16
	ds_read_b64 v[34:35], v67 offset:7776
	ds_read_b64 v[40:41], v67 offset:5184
	;; [unrolled: 1-line block ×3, first 2 shown]
	ds_read_b64 v[74:75], v67
	ds_read_b64 v[76:77], v67 offset:18144
	ds_read_b64 v[78:79], v67 offset:15552
	;; [unrolled: 1-line block ×8, first 2 shown]
	v_mul_lo_u32 v8, s3, v68
	v_mad_u64_u32 v[68:69], s[2:3], s2, v68, 0
	v_mov_b32_e32 v67, v9
	s_mov_b32 s3, 0xca4587e7
	v_add3_u32 v69, v69, v46, v8
	v_mov_b32_e32 v8, s11
	s_movk_i32 s2, 0x6000
	s_waitcnt vmcnt(7)
	v_mul_f64 v[96:97], v[30:31], v[2:3]
	s_waitcnt vmcnt(6)
	v_mul_f64 v[98:99], v[32:33], v[6:7]
	s_waitcnt lgkmcnt(7)
	v_mul_f64 v[2:3], v[76:77], v[2:3]
	s_waitcnt lgkmcnt(3)
	v_mul_f64 v[6:7], v[84:85], v[6:7]
	v_fma_f64 v[76:77], v[0:1], v[76:77], -v[96:97]
	v_fma_f64 v[84:85], v[4:5], v[84:85], -v[98:99]
	v_fma_f64 v[0:1], v[30:31], v[0:1], v[2:3]
	v_fma_f64 v[4:5], v[32:33], v[4:5], v[6:7]
	s_waitcnt vmcnt(5)
	v_mul_f64 v[100:101], v[26:27], v[38:39]
	s_waitcnt vmcnt(4)
	v_mul_f64 v[102:103], v[28:29], v[49:50]
	v_mul_f64 v[38:39], v[78:79], v[38:39]
	s_waitcnt lgkmcnt(2)
	v_mul_f64 v[49:50], v[86:87], v[49:50]
	s_waitcnt vmcnt(3)
	v_mul_f64 v[92:93], v[14:15], v[53:54]
	s_waitcnt vmcnt(2)
	v_mul_f64 v[94:95], v[16:17], v[57:58]
	v_mul_f64 v[53:54], v[82:83], v[53:54]
	s_waitcnt lgkmcnt(0)
	v_mul_f64 v[57:58], v[90:91], v[57:58]
	v_fma_f64 v[2:3], v[36:37], v[78:79], -v[100:101]
	v_fma_f64 v[6:7], v[47:48], v[86:87], -v[102:103]
	v_fma_f64 v[26:27], v[26:27], v[36:37], v[38:39]
	v_fma_f64 v[36:37], v[28:29], v[47:48], v[49:50]
	s_waitcnt vmcnt(1)
	v_mul_f64 v[104:105], v[22:23], v[61:62]
	s_waitcnt vmcnt(0)
	v_mul_f64 v[106:107], v[24:25], v[72:73]
	v_mul_f64 v[61:62], v[80:81], v[61:62]
	;; [unrolled: 1-line block ×3, first 2 shown]
	v_add_f64 v[28:29], v[34:35], v[76:77]
	v_add_f64 v[30:31], v[0:1], v[4:5]
	v_add_f64 v[32:33], v[76:77], -v[84:85]
	v_fma_f64 v[82:83], v[51:52], v[82:83], -v[92:93]
	v_fma_f64 v[38:39], v[59:60], v[80:81], -v[104:105]
	;; [unrolled: 1-line block ×3, first 2 shown]
	v_fma_f64 v[48:49], v[22:23], v[59:60], v[61:62]
	v_fma_f64 v[59:60], v[24:25], v[70:71], v[72:73]
	v_add_f64 v[22:23], v[76:77], v[84:85]
	v_add_f64 v[24:25], v[0:1], -v[4:5]
	v_add_f64 v[0:1], v[20:21], v[0:1]
	v_add_f64 v[61:62], v[2:3], v[6:7]
	v_add_f64 v[70:71], v[26:27], -v[36:37]
	v_add_f64 v[76:77], v[26:27], v[36:37]
	v_add_f64 v[80:81], v[18:19], v[26:27]
	;; [unrolled: 1-line block ×4, first 2 shown]
	v_add_f64 v[78:79], v[2:3], -v[6:7]
	v_fma_f64 v[22:23], v[22:23], -0.5, v[34:35]
	v_add_f64 v[2:3], v[28:29], v[84:85]
	v_fma_f64 v[28:29], v[30:31], -0.5, v[20:21]
	v_add_f64 v[0:1], v[0:1], v[4:5]
	v_fma_f64 v[4:5], v[61:62], -0.5, v[40:41]
	v_fma_f64 v[34:35], v[26:27], -0.5, v[44:45]
	v_add_f64 v[40:41], v[48:49], -v[59:60]
	v_fma_f64 v[50:51], v[14:15], v[51:52], v[53:54]
	v_fma_f64 v[16:17], v[16:17], v[55:56], v[57:58]
	v_fma_f64 v[61:62], v[55:56], v[90:91], -v[94:95]
	v_fma_f64 v[30:31], v[76:77], -0.5, v[18:19]
	v_fma_f64 v[20:21], v[24:25], s[4:5], v[22:23]
	v_fma_f64 v[24:25], v[24:25], s[6:7], v[22:23]
	;; [unrolled: 1-line block ×6, first 2 shown]
	v_add_f64 v[52:53], v[48:49], v[59:60]
	v_add_f64 v[4:5], v[80:81], v[36:37]
	v_fma_f64 v[14:15], v[40:41], s[4:5], v[34:35]
	v_fma_f64 v[36:37], v[40:41], s[6:7], v[34:35]
	v_add_f64 v[34:35], v[50:51], v[16:17]
	v_add_f64 v[44:45], v[44:45], v[38:39]
	;; [unrolled: 1-line block ×3, first 2 shown]
	v_add_f64 v[38:39], v[38:39], -v[46:47]
	v_fma_f64 v[52:53], v[52:53], -0.5, v[12:13]
	v_add_f64 v[6:7], v[72:73], v[6:7]
	v_add_f64 v[72:73], v[82:83], -v[61:62]
	v_add_f64 v[56:57], v[74:75], v[82:83]
	v_fma_f64 v[70:71], v[34:35], -0.5, v[10:11]
	v_add_f64 v[10:11], v[10:11], v[50:51]
	v_add_f64 v[40:41], v[44:45], v[46:47]
	;; [unrolled: 1-line block ×3, first 2 shown]
	v_fma_f64 v[48:49], v[54:55], -0.5, v[74:75]
	v_add_f64 v[54:55], v[50:51], -v[16:17]
	v_fma_f64 v[12:13], v[38:39], s[6:7], v[52:53]
	v_fma_f64 v[34:35], v[38:39], s[4:5], v[52:53]
	v_fma_f64 v[26:27], v[78:79], s[6:7], v[30:31]
	v_add_f64 v[52:53], v[10:11], v[16:17]
	v_lshlrev_b64 v[10:11], 4, v[68:69]
	v_add_f64 v[38:39], v[44:45], v[59:60]
	v_add_co_u32_e32 v16, vcc, s10, v10
	v_addc_co_u32_e32 v8, vcc, v8, v11, vcc
	v_lshlrev_b64 v[10:11], 4, v[64:65]
	v_fma_f64 v[46:47], v[54:55], s[4:5], v[48:49]
	v_fma_f64 v[50:51], v[54:55], s[6:7], v[48:49]
	;; [unrolled: 1-line block ×3, first 2 shown]
	v_add_f64 v[54:55], v[56:57], v[61:62]
	v_add_co_u32_e32 v56, vcc, v16, v10
	v_fma_f64 v[44:45], v[72:73], s[6:7], v[70:71]
	v_addc_co_u32_e32 v57, vcc, v8, v11, vcc
	v_lshlrev_b64 v[10:11], 4, v[66:67]
	v_mul_hi_u32 v8, v42, s3
	v_add_co_u32_e32 v10, vcc, v56, v10
	v_addc_co_u32_e32 v11, vcc, v57, v11, vcc
	v_add_co_u32_e32 v16, vcc, s0, v10
	v_addc_co_u32_e32 v17, vcc, 0, v11, vcc
	global_store_dwordx4 v[16:17], v[48:51], off offset:256
	v_add_co_u32_e32 v16, vcc, s1, v10
	v_addc_co_u32_e32 v17, vcc, 0, v11, vcc
	global_store_dwordx4 v[16:17], v[44:47], off offset:512
	;; [unrolled: 3-line block ×3, first 2 shown]
	v_add_co_u32_e32 v16, vcc, s2, v10
	v_addc_co_u32_e32 v17, vcc, 0, v11, vcc
	s_mov_b32 s2, 0xb000
	v_fma_f64 v[30:31], v[78:79], s[4:5], v[30:31]
	global_store_dwordx4 v[10:11], v[52:55], off
	v_add_co_u32_e32 v10, vcc, s2, v10
	v_lshrrev_b32_e32 v8, 10, v8
	s_movk_i32 s2, 0xa20
	v_addc_co_u32_e32 v11, vcc, 0, v11, vcc
	v_mad_u32_u24 v8, v8, s2, v42
	global_store_dwordx4 v[10:11], v[12:15], off offset:1600
	v_lshlrev_b64 v[10:11], 4, v[8:9]
	global_store_dwordx4 v[16:17], v[34:37], off offset:1344
	v_add_co_u32_e32 v10, vcc, v56, v10
	v_addc_co_u32_e32 v11, vcc, v57, v11, vcc
	global_store_dwordx4 v[10:11], v[4:7], off
	s_nop 0
	v_add_co_u32_e32 v4, vcc, s0, v10
	v_mul_hi_u32 v6, v43, s3
	v_addc_co_u32_e32 v5, vcc, 0, v11, vcc
	global_store_dwordx4 v[4:5], v[30:33], off offset:256
	v_add_co_u32_e32 v4, vcc, s1, v10
	v_addc_co_u32_e32 v5, vcc, 0, v11, vcc
	global_store_dwordx4 v[4:5], v[26:29], off offset:512
	v_lshrrev_b32_e32 v4, 10, v6
	v_mad_u32_u24 v8, v4, s2, v43
	v_lshlrev_b64 v[4:5], 4, v[8:9]
	v_add_co_u32_e32 v4, vcc, v56, v4
	v_addc_co_u32_e32 v5, vcc, v57, v5, vcc
	global_store_dwordx4 v[4:5], v[0:3], off
	s_nop 0
	v_add_co_u32_e32 v0, vcc, 0x5000, v4
	v_addc_co_u32_e32 v1, vcc, 0, v5, vcc
	global_store_dwordx4 v[0:1], v[22:25], off offset:256
	v_add_co_u32_e32 v0, vcc, 0xa000, v4
	v_addc_co_u32_e32 v1, vcc, 0, v5, vcc
	global_store_dwordx4 v[0:1], v[18:21], off offset:512
.LBB0_17:
	s_endpgm
	.section	.rodata,"a",@progbits
	.p2align	6, 0x0
	.amdhsa_kernel fft_rtc_back_len3888_factors_16_3_3_3_3_3_wgs_324_tpt_324_halfLds_dp_op_CI_CI_unitstride_sbrr_dirReg
		.amdhsa_group_segment_fixed_size 0
		.amdhsa_private_segment_fixed_size 0
		.amdhsa_kernarg_size 104
		.amdhsa_user_sgpr_count 6
		.amdhsa_user_sgpr_private_segment_buffer 1
		.amdhsa_user_sgpr_dispatch_ptr 0
		.amdhsa_user_sgpr_queue_ptr 0
		.amdhsa_user_sgpr_kernarg_segment_ptr 1
		.amdhsa_user_sgpr_dispatch_id 0
		.amdhsa_user_sgpr_flat_scratch_init 0
		.amdhsa_user_sgpr_private_segment_size 0
		.amdhsa_uses_dynamic_stack 0
		.amdhsa_system_sgpr_private_segment_wavefront_offset 0
		.amdhsa_system_sgpr_workgroup_id_x 1
		.amdhsa_system_sgpr_workgroup_id_y 0
		.amdhsa_system_sgpr_workgroup_id_z 0
		.amdhsa_system_sgpr_workgroup_info 0
		.amdhsa_system_vgpr_workitem_id 0
		.amdhsa_next_free_vgpr 111
		.amdhsa_next_free_sgpr 28
		.amdhsa_reserve_vcc 1
		.amdhsa_reserve_flat_scratch 0
		.amdhsa_float_round_mode_32 0
		.amdhsa_float_round_mode_16_64 0
		.amdhsa_float_denorm_mode_32 3
		.amdhsa_float_denorm_mode_16_64 3
		.amdhsa_dx10_clamp 1
		.amdhsa_ieee_mode 1
		.amdhsa_fp16_overflow 0
		.amdhsa_exception_fp_ieee_invalid_op 0
		.amdhsa_exception_fp_denorm_src 0
		.amdhsa_exception_fp_ieee_div_zero 0
		.amdhsa_exception_fp_ieee_overflow 0
		.amdhsa_exception_fp_ieee_underflow 0
		.amdhsa_exception_fp_ieee_inexact 0
		.amdhsa_exception_int_div_zero 0
	.end_amdhsa_kernel
	.text
.Lfunc_end0:
	.size	fft_rtc_back_len3888_factors_16_3_3_3_3_3_wgs_324_tpt_324_halfLds_dp_op_CI_CI_unitstride_sbrr_dirReg, .Lfunc_end0-fft_rtc_back_len3888_factors_16_3_3_3_3_3_wgs_324_tpt_324_halfLds_dp_op_CI_CI_unitstride_sbrr_dirReg
                                        ; -- End function
	.section	.AMDGPU.csdata,"",@progbits
; Kernel info:
; codeLenInByte = 10108
; NumSgprs: 32
; NumVgprs: 111
; ScratchSize: 0
; MemoryBound: 1
; FloatMode: 240
; IeeeMode: 1
; LDSByteSize: 0 bytes/workgroup (compile time only)
; SGPRBlocks: 3
; VGPRBlocks: 27
; NumSGPRsForWavesPerEU: 32
; NumVGPRsForWavesPerEU: 111
; Occupancy: 2
; WaveLimiterHint : 1
; COMPUTE_PGM_RSRC2:SCRATCH_EN: 0
; COMPUTE_PGM_RSRC2:USER_SGPR: 6
; COMPUTE_PGM_RSRC2:TRAP_HANDLER: 0
; COMPUTE_PGM_RSRC2:TGID_X_EN: 1
; COMPUTE_PGM_RSRC2:TGID_Y_EN: 0
; COMPUTE_PGM_RSRC2:TGID_Z_EN: 0
; COMPUTE_PGM_RSRC2:TIDIG_COMP_CNT: 0
	.type	__hip_cuid_6d05712dd2072af,@object ; @__hip_cuid_6d05712dd2072af
	.section	.bss,"aw",@nobits
	.globl	__hip_cuid_6d05712dd2072af
__hip_cuid_6d05712dd2072af:
	.byte	0                               ; 0x0
	.size	__hip_cuid_6d05712dd2072af, 1

	.ident	"AMD clang version 19.0.0git (https://github.com/RadeonOpenCompute/llvm-project roc-6.4.0 25133 c7fe45cf4b819c5991fe208aaa96edf142730f1d)"
	.section	".note.GNU-stack","",@progbits
	.addrsig
	.addrsig_sym __hip_cuid_6d05712dd2072af
	.amdgpu_metadata
---
amdhsa.kernels:
  - .args:
      - .actual_access:  read_only
        .address_space:  global
        .offset:         0
        .size:           8
        .value_kind:     global_buffer
      - .offset:         8
        .size:           8
        .value_kind:     by_value
      - .actual_access:  read_only
        .address_space:  global
        .offset:         16
        .size:           8
        .value_kind:     global_buffer
      - .actual_access:  read_only
        .address_space:  global
        .offset:         24
        .size:           8
        .value_kind:     global_buffer
      - .actual_access:  read_only
        .address_space:  global
        .offset:         32
        .size:           8
        .value_kind:     global_buffer
      - .offset:         40
        .size:           8
        .value_kind:     by_value
      - .actual_access:  read_only
        .address_space:  global
        .offset:         48
        .size:           8
        .value_kind:     global_buffer
      - .actual_access:  read_only
        .address_space:  global
        .offset:         56
        .size:           8
        .value_kind:     global_buffer
      - .offset:         64
        .size:           4
        .value_kind:     by_value
      - .actual_access:  read_only
        .address_space:  global
        .offset:         72
        .size:           8
        .value_kind:     global_buffer
      - .actual_access:  read_only
        .address_space:  global
        .offset:         80
        .size:           8
        .value_kind:     global_buffer
      - .actual_access:  read_only
        .address_space:  global
        .offset:         88
        .size:           8
        .value_kind:     global_buffer
      - .actual_access:  write_only
        .address_space:  global
        .offset:         96
        .size:           8
        .value_kind:     global_buffer
    .group_segment_fixed_size: 0
    .kernarg_segment_align: 8
    .kernarg_segment_size: 104
    .language:       OpenCL C
    .language_version:
      - 2
      - 0
    .max_flat_workgroup_size: 324
    .name:           fft_rtc_back_len3888_factors_16_3_3_3_3_3_wgs_324_tpt_324_halfLds_dp_op_CI_CI_unitstride_sbrr_dirReg
    .private_segment_fixed_size: 0
    .sgpr_count:     32
    .sgpr_spill_count: 0
    .symbol:         fft_rtc_back_len3888_factors_16_3_3_3_3_3_wgs_324_tpt_324_halfLds_dp_op_CI_CI_unitstride_sbrr_dirReg.kd
    .uniform_work_group_size: 1
    .uses_dynamic_stack: false
    .vgpr_count:     111
    .vgpr_spill_count: 0
    .wavefront_size: 64
amdhsa.target:   amdgcn-amd-amdhsa--gfx906
amdhsa.version:
  - 1
  - 2
...

	.end_amdgpu_metadata
